;; amdgpu-corpus repo=ROCm/rocSOLVER kind=compiled arch=gfx1250 opt=O3
	.amdgcn_target "amdgcn-amd-amdhsa--gfx1250"
	.amdhsa_code_object_version 6
	.section	.text._ZN9rocsolver6v33100L9copymatA1IfPfEEviiT0_iilPT_,"axG",@progbits,_ZN9rocsolver6v33100L9copymatA1IfPfEEviiT0_iilPT_,comdat
	.globl	_ZN9rocsolver6v33100L9copymatA1IfPfEEviiT0_iilPT_ ; -- Begin function _ZN9rocsolver6v33100L9copymatA1IfPfEEviiT0_iilPT_
	.p2align	8
	.type	_ZN9rocsolver6v33100L9copymatA1IfPfEEviiT0_iilPT_,@function
_ZN9rocsolver6v33100L9copymatA1IfPfEEviiT0_iilPT_: ; @_ZN9rocsolver6v33100L9copymatA1IfPfEEviiT0_iilPT_
; %bb.0:
	s_clause 0x1
	s_load_b32 s2, s[0:1], 0x34
	s_load_b64 s[12:13], s[0:1], 0x0
	s_bfe_u32 s4, ttmp6, 0x40010
	s_bfe_u32 s7, ttmp6, 0x4000c
	s_and_b32 s3, ttmp7, 0xffff
	s_add_co_i32 s4, s4, 1
	s_add_co_i32 s7, s7, 1
	s_bfe_u32 s5, ttmp6, 0x40004
	s_and_b32 s6, ttmp6, 15
	s_mul_i32 s4, s3, s4
	s_mul_i32 s7, ttmp9, s7
	s_getreg_b32 s14, hwreg(HW_REG_IB_STS2, 6, 4)
	v_and_b32_e32 v1, 0x3ff, v0
	v_bfe_u32 v0, v0, 10, 10
	s_add_co_i32 s5, s5, s4
	s_add_co_i32 s6, s6, s7
	s_wait_kmcnt 0x0
	s_lshr_b32 s4, s2, 16
	s_and_b32 s2, s2, 0xffff
	s_cmp_eq_u32 s14, 0
	s_cselect_b32 s3, s3, s5
	s_cselect_b32 s5, ttmp9, s6
	v_mad_u32 v0, s3, s4, v0
	v_mad_u32 v1, s5, s2, v1
	s_mov_b32 s3, 0
	s_delay_alu instid0(VALU_DEP_2) | instskip(NEXT) | instid1(VALU_DEP_2)
	v_cmp_gt_u32_e32 vcc_lo, s12, v0
	v_cmp_gt_u32_e64 s2, s13, v1
	s_and_b32 s2, s2, vcc_lo
	s_delay_alu instid0(SALU_CYCLE_1)
	s_and_saveexec_b32 s4, s2
	s_cbranch_execz .LBB0_2
; %bb.1:
	s_load_b256 s[4:11], s[0:1], 0x8
	s_wait_xcnt 0x0
	s_bfe_u32 s0, ttmp6, 0x40014
	s_lshr_b32 s2, ttmp7, 16
	s_add_co_i32 s0, s0, 1
	s_bfe_u32 s16, ttmp6, 0x40008
	s_mul_i32 s0, s2, s0
	s_ashr_i32 s1, s12, 31
	s_ashr_i32 s15, s13, 31
	s_add_co_i32 s16, s16, s0
	s_cmp_eq_u32 s14, 0
	s_mov_b32 s0, s12
	s_cselect_b32 s2, s2, s16
	s_mov_b32 s14, s13
	s_mul_u64 s[0:1], s[0:1], s[2:3]
	s_delay_alu instid0(SALU_CYCLE_1) | instskip(NEXT) | instid1(SALU_CYCLE_1)
	s_mul_u64 s[0:1], s[0:1], s[14:15]
	s_lshl_b64 s[0:1], s[0:1], 2
	s_wait_kmcnt 0x0
	v_mad_u32 v2, v1, s7, v0
	s_mul_u64 s[8:9], s[8:9], s[2:3]
	s_ashr_i32 s7, s6, 31
	s_lshl_b64 s[8:9], s[8:9], 2
	s_lshl_b64 s[6:7], s[6:7], 2
	s_add_nc_u64 s[4:5], s[4:5], s[8:9]
	v_mad_u32 v0, v1, s12, v0
	s_add_nc_u64 s[4:5], s[4:5], s[6:7]
	s_add_nc_u64 s[0:1], s[10:11], s[0:1]
	global_load_b32 v2, v2, s[4:5] scale_offset
	s_wait_loadcnt 0x0
	global_store_b32 v0, v2, s[0:1] scale_offset
.LBB0_2:
	s_endpgm
	.section	.rodata,"a",@progbits
	.p2align	6, 0x0
	.amdhsa_kernel _ZN9rocsolver6v33100L9copymatA1IfPfEEviiT0_iilPT_
		.amdhsa_group_segment_fixed_size 0
		.amdhsa_private_segment_fixed_size 0
		.amdhsa_kernarg_size 296
		.amdhsa_user_sgpr_count 2
		.amdhsa_user_sgpr_dispatch_ptr 0
		.amdhsa_user_sgpr_queue_ptr 0
		.amdhsa_user_sgpr_kernarg_segment_ptr 1
		.amdhsa_user_sgpr_dispatch_id 0
		.amdhsa_user_sgpr_kernarg_preload_length 0
		.amdhsa_user_sgpr_kernarg_preload_offset 0
		.amdhsa_user_sgpr_private_segment_size 0
		.amdhsa_wavefront_size32 1
		.amdhsa_uses_dynamic_stack 0
		.amdhsa_enable_private_segment 0
		.amdhsa_system_sgpr_workgroup_id_x 1
		.amdhsa_system_sgpr_workgroup_id_y 1
		.amdhsa_system_sgpr_workgroup_id_z 1
		.amdhsa_system_sgpr_workgroup_info 0
		.amdhsa_system_vgpr_workitem_id 1
		.amdhsa_next_free_vgpr 3
		.amdhsa_next_free_sgpr 17
		.amdhsa_named_barrier_count 0
		.amdhsa_reserve_vcc 1
		.amdhsa_float_round_mode_32 0
		.amdhsa_float_round_mode_16_64 0
		.amdhsa_float_denorm_mode_32 3
		.amdhsa_float_denorm_mode_16_64 3
		.amdhsa_fp16_overflow 0
		.amdhsa_memory_ordered 1
		.amdhsa_forward_progress 1
		.amdhsa_inst_pref_size 3
		.amdhsa_round_robin_scheduling 0
		.amdhsa_exception_fp_ieee_invalid_op 0
		.amdhsa_exception_fp_denorm_src 0
		.amdhsa_exception_fp_ieee_div_zero 0
		.amdhsa_exception_fp_ieee_overflow 0
		.amdhsa_exception_fp_ieee_underflow 0
		.amdhsa_exception_fp_ieee_inexact 0
		.amdhsa_exception_int_div_zero 0
	.end_amdhsa_kernel
	.section	.text._ZN9rocsolver6v33100L9copymatA1IfPfEEviiT0_iilPT_,"axG",@progbits,_ZN9rocsolver6v33100L9copymatA1IfPfEEviiT0_iilPT_,comdat
.Lfunc_end0:
	.size	_ZN9rocsolver6v33100L9copymatA1IfPfEEviiT0_iilPT_, .Lfunc_end0-_ZN9rocsolver6v33100L9copymatA1IfPfEEviiT0_iilPT_
                                        ; -- End function
	.set _ZN9rocsolver6v33100L9copymatA1IfPfEEviiT0_iilPT_.num_vgpr, 3
	.set _ZN9rocsolver6v33100L9copymatA1IfPfEEviiT0_iilPT_.num_agpr, 0
	.set _ZN9rocsolver6v33100L9copymatA1IfPfEEviiT0_iilPT_.numbered_sgpr, 17
	.set _ZN9rocsolver6v33100L9copymatA1IfPfEEviiT0_iilPT_.num_named_barrier, 0
	.set _ZN9rocsolver6v33100L9copymatA1IfPfEEviiT0_iilPT_.private_seg_size, 0
	.set _ZN9rocsolver6v33100L9copymatA1IfPfEEviiT0_iilPT_.uses_vcc, 1
	.set _ZN9rocsolver6v33100L9copymatA1IfPfEEviiT0_iilPT_.uses_flat_scratch, 0
	.set _ZN9rocsolver6v33100L9copymatA1IfPfEEviiT0_iilPT_.has_dyn_sized_stack, 0
	.set _ZN9rocsolver6v33100L9copymatA1IfPfEEviiT0_iilPT_.has_recursion, 0
	.set _ZN9rocsolver6v33100L9copymatA1IfPfEEviiT0_iilPT_.has_indirect_call, 0
	.section	.AMDGPU.csdata,"",@progbits
; Kernel info:
; codeLenInByte = 344
; TotalNumSgprs: 19
; NumVgprs: 3
; ScratchSize: 0
; MemoryBound: 0
; FloatMode: 240
; IeeeMode: 1
; LDSByteSize: 0 bytes/workgroup (compile time only)
; SGPRBlocks: 0
; VGPRBlocks: 0
; NumSGPRsForWavesPerEU: 19
; NumVGPRsForWavesPerEU: 3
; NamedBarCnt: 0
; Occupancy: 16
; WaveLimiterHint : 0
; COMPUTE_PGM_RSRC2:SCRATCH_EN: 0
; COMPUTE_PGM_RSRC2:USER_SGPR: 2
; COMPUTE_PGM_RSRC2:TRAP_HANDLER: 0
; COMPUTE_PGM_RSRC2:TGID_X_EN: 1
; COMPUTE_PGM_RSRC2:TGID_Y_EN: 1
; COMPUTE_PGM_RSRC2:TGID_Z_EN: 1
; COMPUTE_PGM_RSRC2:TIDIG_COMP_CNT: 1
	.section	.text._ZN9rocsolver6v33100L8addmatA1IfPfEEviiT0_iilPT_,"axG",@progbits,_ZN9rocsolver6v33100L8addmatA1IfPfEEviiT0_iilPT_,comdat
	.globl	_ZN9rocsolver6v33100L8addmatA1IfPfEEviiT0_iilPT_ ; -- Begin function _ZN9rocsolver6v33100L8addmatA1IfPfEEviiT0_iilPT_
	.p2align	8
	.type	_ZN9rocsolver6v33100L8addmatA1IfPfEEviiT0_iilPT_,@function
_ZN9rocsolver6v33100L8addmatA1IfPfEEviiT0_iilPT_: ; @_ZN9rocsolver6v33100L8addmatA1IfPfEEviiT0_iilPT_
; %bb.0:
	s_clause 0x1
	s_load_b32 s2, s[0:1], 0x34
	s_load_b64 s[12:13], s[0:1], 0x0
	s_bfe_u32 s4, ttmp6, 0x40010
	s_bfe_u32 s7, ttmp6, 0x4000c
	s_and_b32 s3, ttmp7, 0xffff
	s_add_co_i32 s4, s4, 1
	s_add_co_i32 s7, s7, 1
	s_bfe_u32 s5, ttmp6, 0x40004
	s_and_b32 s6, ttmp6, 15
	s_mul_i32 s4, s3, s4
	s_mul_i32 s7, ttmp9, s7
	s_getreg_b32 s14, hwreg(HW_REG_IB_STS2, 6, 4)
	v_and_b32_e32 v1, 0x3ff, v0
	v_bfe_u32 v0, v0, 10, 10
	s_add_co_i32 s5, s5, s4
	s_add_co_i32 s6, s6, s7
	s_wait_kmcnt 0x0
	s_lshr_b32 s4, s2, 16
	s_and_b32 s2, s2, 0xffff
	s_cmp_eq_u32 s14, 0
	s_cselect_b32 s3, s3, s5
	s_cselect_b32 s5, ttmp9, s6
	v_mad_u32 v0, s3, s4, v0
	v_mad_u32 v1, s5, s2, v1
	s_mov_b32 s3, 0
	s_delay_alu instid0(VALU_DEP_2) | instskip(NEXT) | instid1(VALU_DEP_2)
	v_cmp_gt_u32_e32 vcc_lo, s12, v0
	v_cmp_gt_u32_e64 s2, s13, v1
	s_and_b32 s2, s2, vcc_lo
	s_delay_alu instid0(SALU_CYCLE_1)
	s_and_saveexec_b32 s4, s2
	s_cbranch_execz .LBB1_2
; %bb.1:
	s_load_b256 s[4:11], s[0:1], 0x8
	s_wait_xcnt 0x0
	s_bfe_u32 s0, ttmp6, 0x40014
	s_lshr_b32 s2, ttmp7, 16
	s_add_co_i32 s0, s0, 1
	s_bfe_u32 s16, ttmp6, 0x40008
	s_mul_i32 s0, s2, s0
	s_ashr_i32 s1, s12, 31
	s_ashr_i32 s15, s13, 31
	s_add_co_i32 s16, s16, s0
	s_cmp_eq_u32 s14, 0
	v_mad_u32 v2, v1, s12, v0
	s_mov_b32 s0, s12
	s_cselect_b32 s2, s2, s16
	s_mov_b32 s14, s13
	s_mul_u64 s[0:1], s[0:1], s[2:3]
	s_delay_alu instid0(SALU_CYCLE_1) | instskip(NEXT) | instid1(SALU_CYCLE_1)
	s_mul_u64 s[0:1], s[0:1], s[14:15]
	s_lshl_b64 s[0:1], s[0:1], 2
	s_wait_kmcnt 0x0
	v_mad_u32 v0, v1, s7, v0
	s_mul_u64 s[2:3], s[8:9], s[2:3]
	s_ashr_i32 s7, s6, 31
	s_lshl_b64 s[2:3], s[2:3], 2
	s_add_nc_u64 s[0:1], s[10:11], s[0:1]
	s_add_nc_u64 s[2:3], s[4:5], s[2:3]
	s_lshl_b64 s[4:5], s[6:7], 2
	s_delay_alu instid0(SALU_CYCLE_1)
	s_add_nc_u64 s[2:3], s[2:3], s[4:5]
	global_load_b32 v1, v2, s[0:1] scale_offset
	global_load_b32 v3, v0, s[2:3] scale_offset
	s_wait_loadcnt 0x0
	v_sub_f32_e32 v1, v3, v1
	global_store_b32 v0, v1, s[2:3] scale_offset
.LBB1_2:
	s_endpgm
	.section	.rodata,"a",@progbits
	.p2align	6, 0x0
	.amdhsa_kernel _ZN9rocsolver6v33100L8addmatA1IfPfEEviiT0_iilPT_
		.amdhsa_group_segment_fixed_size 0
		.amdhsa_private_segment_fixed_size 0
		.amdhsa_kernarg_size 296
		.amdhsa_user_sgpr_count 2
		.amdhsa_user_sgpr_dispatch_ptr 0
		.amdhsa_user_sgpr_queue_ptr 0
		.amdhsa_user_sgpr_kernarg_segment_ptr 1
		.amdhsa_user_sgpr_dispatch_id 0
		.amdhsa_user_sgpr_kernarg_preload_length 0
		.amdhsa_user_sgpr_kernarg_preload_offset 0
		.amdhsa_user_sgpr_private_segment_size 0
		.amdhsa_wavefront_size32 1
		.amdhsa_uses_dynamic_stack 0
		.amdhsa_enable_private_segment 0
		.amdhsa_system_sgpr_workgroup_id_x 1
		.amdhsa_system_sgpr_workgroup_id_y 1
		.amdhsa_system_sgpr_workgroup_id_z 1
		.amdhsa_system_sgpr_workgroup_info 0
		.amdhsa_system_vgpr_workitem_id 1
		.amdhsa_next_free_vgpr 4
		.amdhsa_next_free_sgpr 17
		.amdhsa_named_barrier_count 0
		.amdhsa_reserve_vcc 1
		.amdhsa_float_round_mode_32 0
		.amdhsa_float_round_mode_16_64 0
		.amdhsa_float_denorm_mode_32 3
		.amdhsa_float_denorm_mode_16_64 3
		.amdhsa_fp16_overflow 0
		.amdhsa_memory_ordered 1
		.amdhsa_forward_progress 1
		.amdhsa_inst_pref_size 3
		.amdhsa_round_robin_scheduling 0
		.amdhsa_exception_fp_ieee_invalid_op 0
		.amdhsa_exception_fp_denorm_src 0
		.amdhsa_exception_fp_ieee_div_zero 0
		.amdhsa_exception_fp_ieee_overflow 0
		.amdhsa_exception_fp_ieee_underflow 0
		.amdhsa_exception_fp_ieee_inexact 0
		.amdhsa_exception_int_div_zero 0
	.end_amdhsa_kernel
	.section	.text._ZN9rocsolver6v33100L8addmatA1IfPfEEviiT0_iilPT_,"axG",@progbits,_ZN9rocsolver6v33100L8addmatA1IfPfEEviiT0_iilPT_,comdat
.Lfunc_end1:
	.size	_ZN9rocsolver6v33100L8addmatA1IfPfEEviiT0_iilPT_, .Lfunc_end1-_ZN9rocsolver6v33100L8addmatA1IfPfEEviiT0_iilPT_
                                        ; -- End function
	.set _ZN9rocsolver6v33100L8addmatA1IfPfEEviiT0_iilPT_.num_vgpr, 4
	.set _ZN9rocsolver6v33100L8addmatA1IfPfEEviiT0_iilPT_.num_agpr, 0
	.set _ZN9rocsolver6v33100L8addmatA1IfPfEEviiT0_iilPT_.numbered_sgpr, 17
	.set _ZN9rocsolver6v33100L8addmatA1IfPfEEviiT0_iilPT_.num_named_barrier, 0
	.set _ZN9rocsolver6v33100L8addmatA1IfPfEEviiT0_iilPT_.private_seg_size, 0
	.set _ZN9rocsolver6v33100L8addmatA1IfPfEEviiT0_iilPT_.uses_vcc, 1
	.set _ZN9rocsolver6v33100L8addmatA1IfPfEEviiT0_iilPT_.uses_flat_scratch, 0
	.set _ZN9rocsolver6v33100L8addmatA1IfPfEEviiT0_iilPT_.has_dyn_sized_stack, 0
	.set _ZN9rocsolver6v33100L8addmatA1IfPfEEviiT0_iilPT_.has_recursion, 0
	.set _ZN9rocsolver6v33100L8addmatA1IfPfEEviiT0_iilPT_.has_indirect_call, 0
	.section	.AMDGPU.csdata,"",@progbits
; Kernel info:
; codeLenInByte = 364
; TotalNumSgprs: 19
; NumVgprs: 4
; ScratchSize: 0
; MemoryBound: 0
; FloatMode: 240
; IeeeMode: 1
; LDSByteSize: 0 bytes/workgroup (compile time only)
; SGPRBlocks: 0
; VGPRBlocks: 0
; NumSGPRsForWavesPerEU: 19
; NumVGPRsForWavesPerEU: 4
; NamedBarCnt: 0
; Occupancy: 16
; WaveLimiterHint : 0
; COMPUTE_PGM_RSRC2:SCRATCH_EN: 0
; COMPUTE_PGM_RSRC2:USER_SGPR: 2
; COMPUTE_PGM_RSRC2:TRAP_HANDLER: 0
; COMPUTE_PGM_RSRC2:TGID_X_EN: 1
; COMPUTE_PGM_RSRC2:TGID_Y_EN: 1
; COMPUTE_PGM_RSRC2:TGID_Z_EN: 1
; COMPUTE_PGM_RSRC2:TIDIG_COMP_CNT: 1
	.section	.text._ZN9rocsolver6v33100L9copymatA1IdPdEEviiT0_iilPT_,"axG",@progbits,_ZN9rocsolver6v33100L9copymatA1IdPdEEviiT0_iilPT_,comdat
	.globl	_ZN9rocsolver6v33100L9copymatA1IdPdEEviiT0_iilPT_ ; -- Begin function _ZN9rocsolver6v33100L9copymatA1IdPdEEviiT0_iilPT_
	.p2align	8
	.type	_ZN9rocsolver6v33100L9copymatA1IdPdEEviiT0_iilPT_,@function
_ZN9rocsolver6v33100L9copymatA1IdPdEEviiT0_iilPT_: ; @_ZN9rocsolver6v33100L9copymatA1IdPdEEviiT0_iilPT_
; %bb.0:
	s_clause 0x1
	s_load_b32 s2, s[0:1], 0x34
	s_load_b64 s[12:13], s[0:1], 0x0
	s_bfe_u32 s4, ttmp6, 0x40010
	s_bfe_u32 s7, ttmp6, 0x4000c
	s_and_b32 s3, ttmp7, 0xffff
	s_add_co_i32 s4, s4, 1
	s_add_co_i32 s7, s7, 1
	s_bfe_u32 s5, ttmp6, 0x40004
	s_and_b32 s6, ttmp6, 15
	s_mul_i32 s4, s3, s4
	s_mul_i32 s7, ttmp9, s7
	s_getreg_b32 s14, hwreg(HW_REG_IB_STS2, 6, 4)
	v_and_b32_e32 v1, 0x3ff, v0
	v_bfe_u32 v0, v0, 10, 10
	s_add_co_i32 s5, s5, s4
	s_add_co_i32 s6, s6, s7
	s_wait_kmcnt 0x0
	s_lshr_b32 s4, s2, 16
	s_and_b32 s2, s2, 0xffff
	s_cmp_eq_u32 s14, 0
	s_cselect_b32 s3, s3, s5
	s_cselect_b32 s5, ttmp9, s6
	v_mad_u32 v0, s3, s4, v0
	v_mad_u32 v1, s5, s2, v1
	s_mov_b32 s3, 0
	s_delay_alu instid0(VALU_DEP_2) | instskip(NEXT) | instid1(VALU_DEP_2)
	v_cmp_gt_u32_e32 vcc_lo, s12, v0
	v_cmp_gt_u32_e64 s2, s13, v1
	s_and_b32 s2, s2, vcc_lo
	s_delay_alu instid0(SALU_CYCLE_1)
	s_and_saveexec_b32 s4, s2
	s_cbranch_execz .LBB2_2
; %bb.1:
	s_load_b256 s[4:11], s[0:1], 0x8
	s_wait_xcnt 0x0
	s_bfe_u32 s0, ttmp6, 0x40014
	s_lshr_b32 s2, ttmp7, 16
	s_add_co_i32 s0, s0, 1
	s_bfe_u32 s16, ttmp6, 0x40008
	s_mul_i32 s0, s2, s0
	s_ashr_i32 s1, s12, 31
	s_ashr_i32 s15, s13, 31
	s_add_co_i32 s16, s16, s0
	s_cmp_eq_u32 s14, 0
	s_mov_b32 s0, s12
	s_cselect_b32 s2, s2, s16
	s_mov_b32 s14, s13
	s_mul_u64 s[0:1], s[0:1], s[2:3]
	s_delay_alu instid0(SALU_CYCLE_1) | instskip(NEXT) | instid1(SALU_CYCLE_1)
	s_mul_u64 s[0:1], s[0:1], s[14:15]
	s_lshl_b64 s[0:1], s[0:1], 3
	s_wait_kmcnt 0x0
	v_mad_u32 v2, v1, s7, v0
	s_mul_u64 s[8:9], s[8:9], s[2:3]
	s_ashr_i32 s7, s6, 31
	s_lshl_b64 s[8:9], s[8:9], 3
	s_lshl_b64 s[6:7], s[6:7], 3
	s_add_nc_u64 s[4:5], s[4:5], s[8:9]
	v_mad_u32 v0, v1, s12, v0
	s_add_nc_u64 s[4:5], s[4:5], s[6:7]
	s_add_nc_u64 s[0:1], s[10:11], s[0:1]
	global_load_b64 v[2:3], v2, s[4:5] scale_offset
	s_wait_loadcnt 0x0
	global_store_b64 v0, v[2:3], s[0:1] scale_offset
.LBB2_2:
	s_endpgm
	.section	.rodata,"a",@progbits
	.p2align	6, 0x0
	.amdhsa_kernel _ZN9rocsolver6v33100L9copymatA1IdPdEEviiT0_iilPT_
		.amdhsa_group_segment_fixed_size 0
		.amdhsa_private_segment_fixed_size 0
		.amdhsa_kernarg_size 296
		.amdhsa_user_sgpr_count 2
		.amdhsa_user_sgpr_dispatch_ptr 0
		.amdhsa_user_sgpr_queue_ptr 0
		.amdhsa_user_sgpr_kernarg_segment_ptr 1
		.amdhsa_user_sgpr_dispatch_id 0
		.amdhsa_user_sgpr_kernarg_preload_length 0
		.amdhsa_user_sgpr_kernarg_preload_offset 0
		.amdhsa_user_sgpr_private_segment_size 0
		.amdhsa_wavefront_size32 1
		.amdhsa_uses_dynamic_stack 0
		.amdhsa_enable_private_segment 0
		.amdhsa_system_sgpr_workgroup_id_x 1
		.amdhsa_system_sgpr_workgroup_id_y 1
		.amdhsa_system_sgpr_workgroup_id_z 1
		.amdhsa_system_sgpr_workgroup_info 0
		.amdhsa_system_vgpr_workitem_id 1
		.amdhsa_next_free_vgpr 4
		.amdhsa_next_free_sgpr 17
		.amdhsa_named_barrier_count 0
		.amdhsa_reserve_vcc 1
		.amdhsa_float_round_mode_32 0
		.amdhsa_float_round_mode_16_64 0
		.amdhsa_float_denorm_mode_32 3
		.amdhsa_float_denorm_mode_16_64 3
		.amdhsa_fp16_overflow 0
		.amdhsa_memory_ordered 1
		.amdhsa_forward_progress 1
		.amdhsa_inst_pref_size 3
		.amdhsa_round_robin_scheduling 0
		.amdhsa_exception_fp_ieee_invalid_op 0
		.amdhsa_exception_fp_denorm_src 0
		.amdhsa_exception_fp_ieee_div_zero 0
		.amdhsa_exception_fp_ieee_overflow 0
		.amdhsa_exception_fp_ieee_underflow 0
		.amdhsa_exception_fp_ieee_inexact 0
		.amdhsa_exception_int_div_zero 0
	.end_amdhsa_kernel
	.section	.text._ZN9rocsolver6v33100L9copymatA1IdPdEEviiT0_iilPT_,"axG",@progbits,_ZN9rocsolver6v33100L9copymatA1IdPdEEviiT0_iilPT_,comdat
.Lfunc_end2:
	.size	_ZN9rocsolver6v33100L9copymatA1IdPdEEviiT0_iilPT_, .Lfunc_end2-_ZN9rocsolver6v33100L9copymatA1IdPdEEviiT0_iilPT_
                                        ; -- End function
	.set _ZN9rocsolver6v33100L9copymatA1IdPdEEviiT0_iilPT_.num_vgpr, 4
	.set _ZN9rocsolver6v33100L9copymatA1IdPdEEviiT0_iilPT_.num_agpr, 0
	.set _ZN9rocsolver6v33100L9copymatA1IdPdEEviiT0_iilPT_.numbered_sgpr, 17
	.set _ZN9rocsolver6v33100L9copymatA1IdPdEEviiT0_iilPT_.num_named_barrier, 0
	.set _ZN9rocsolver6v33100L9copymatA1IdPdEEviiT0_iilPT_.private_seg_size, 0
	.set _ZN9rocsolver6v33100L9copymatA1IdPdEEviiT0_iilPT_.uses_vcc, 1
	.set _ZN9rocsolver6v33100L9copymatA1IdPdEEviiT0_iilPT_.uses_flat_scratch, 0
	.set _ZN9rocsolver6v33100L9copymatA1IdPdEEviiT0_iilPT_.has_dyn_sized_stack, 0
	.set _ZN9rocsolver6v33100L9copymatA1IdPdEEviiT0_iilPT_.has_recursion, 0
	.set _ZN9rocsolver6v33100L9copymatA1IdPdEEviiT0_iilPT_.has_indirect_call, 0
	.section	.AMDGPU.csdata,"",@progbits
; Kernel info:
; codeLenInByte = 344
; TotalNumSgprs: 19
; NumVgprs: 4
; ScratchSize: 0
; MemoryBound: 0
; FloatMode: 240
; IeeeMode: 1
; LDSByteSize: 0 bytes/workgroup (compile time only)
; SGPRBlocks: 0
; VGPRBlocks: 0
; NumSGPRsForWavesPerEU: 19
; NumVGPRsForWavesPerEU: 4
; NamedBarCnt: 0
; Occupancy: 16
; WaveLimiterHint : 0
; COMPUTE_PGM_RSRC2:SCRATCH_EN: 0
; COMPUTE_PGM_RSRC2:USER_SGPR: 2
; COMPUTE_PGM_RSRC2:TRAP_HANDLER: 0
; COMPUTE_PGM_RSRC2:TGID_X_EN: 1
; COMPUTE_PGM_RSRC2:TGID_Y_EN: 1
; COMPUTE_PGM_RSRC2:TGID_Z_EN: 1
; COMPUTE_PGM_RSRC2:TIDIG_COMP_CNT: 1
	.section	.text._ZN9rocsolver6v33100L8addmatA1IdPdEEviiT0_iilPT_,"axG",@progbits,_ZN9rocsolver6v33100L8addmatA1IdPdEEviiT0_iilPT_,comdat
	.globl	_ZN9rocsolver6v33100L8addmatA1IdPdEEviiT0_iilPT_ ; -- Begin function _ZN9rocsolver6v33100L8addmatA1IdPdEEviiT0_iilPT_
	.p2align	8
	.type	_ZN9rocsolver6v33100L8addmatA1IdPdEEviiT0_iilPT_,@function
_ZN9rocsolver6v33100L8addmatA1IdPdEEviiT0_iilPT_: ; @_ZN9rocsolver6v33100L8addmatA1IdPdEEviiT0_iilPT_
; %bb.0:
	s_clause 0x1
	s_load_b32 s2, s[0:1], 0x34
	s_load_b64 s[12:13], s[0:1], 0x0
	s_bfe_u32 s4, ttmp6, 0x40010
	s_bfe_u32 s7, ttmp6, 0x4000c
	s_and_b32 s3, ttmp7, 0xffff
	s_add_co_i32 s4, s4, 1
	s_add_co_i32 s7, s7, 1
	s_bfe_u32 s5, ttmp6, 0x40004
	s_and_b32 s6, ttmp6, 15
	s_mul_i32 s4, s3, s4
	s_mul_i32 s7, ttmp9, s7
	s_getreg_b32 s14, hwreg(HW_REG_IB_STS2, 6, 4)
	v_and_b32_e32 v1, 0x3ff, v0
	v_bfe_u32 v0, v0, 10, 10
	s_add_co_i32 s5, s5, s4
	s_add_co_i32 s6, s6, s7
	s_wait_kmcnt 0x0
	s_lshr_b32 s4, s2, 16
	s_and_b32 s2, s2, 0xffff
	s_cmp_eq_u32 s14, 0
	s_cselect_b32 s3, s3, s5
	s_cselect_b32 s5, ttmp9, s6
	v_mad_u32 v0, s3, s4, v0
	v_mad_u32 v1, s5, s2, v1
	s_mov_b32 s3, 0
	s_delay_alu instid0(VALU_DEP_2) | instskip(NEXT) | instid1(VALU_DEP_2)
	v_cmp_gt_u32_e32 vcc_lo, s12, v0
	v_cmp_gt_u32_e64 s2, s13, v1
	s_and_b32 s2, s2, vcc_lo
	s_delay_alu instid0(SALU_CYCLE_1)
	s_and_saveexec_b32 s4, s2
	s_cbranch_execz .LBB3_2
; %bb.1:
	s_load_b256 s[4:11], s[0:1], 0x8
	s_wait_xcnt 0x0
	s_bfe_u32 s0, ttmp6, 0x40014
	s_lshr_b32 s2, ttmp7, 16
	s_add_co_i32 s0, s0, 1
	s_bfe_u32 s16, ttmp6, 0x40008
	s_mul_i32 s0, s2, s0
	s_ashr_i32 s1, s12, 31
	s_ashr_i32 s15, s13, 31
	s_add_co_i32 s16, s16, s0
	s_cmp_eq_u32 s14, 0
	v_mad_u32 v4, v1, s12, v0
	s_mov_b32 s0, s12
	s_cselect_b32 s2, s2, s16
	s_mov_b32 s14, s13
	s_mul_u64 s[0:1], s[0:1], s[2:3]
	s_delay_alu instid0(SALU_CYCLE_1) | instskip(NEXT) | instid1(SALU_CYCLE_1)
	s_mul_u64 s[0:1], s[0:1], s[14:15]
	s_lshl_b64 s[0:1], s[0:1], 3
	s_wait_kmcnt 0x0
	v_mad_u32 v5, v1, s7, v0
	s_mul_u64 s[2:3], s[8:9], s[2:3]
	s_ashr_i32 s7, s6, 31
	s_lshl_b64 s[2:3], s[2:3], 3
	s_add_nc_u64 s[0:1], s[10:11], s[0:1]
	s_add_nc_u64 s[2:3], s[4:5], s[2:3]
	s_lshl_b64 s[4:5], s[6:7], 3
	s_delay_alu instid0(SALU_CYCLE_1)
	s_add_nc_u64 s[2:3], s[2:3], s[4:5]
	global_load_b64 v[0:1], v4, s[0:1] scale_offset
	global_load_b64 v[2:3], v5, s[2:3] scale_offset
	s_wait_loadcnt 0x0
	v_add_f64_e64 v[0:1], v[2:3], -v[0:1]
	global_store_b64 v5, v[0:1], s[2:3] scale_offset
.LBB3_2:
	s_endpgm
	.section	.rodata,"a",@progbits
	.p2align	6, 0x0
	.amdhsa_kernel _ZN9rocsolver6v33100L8addmatA1IdPdEEviiT0_iilPT_
		.amdhsa_group_segment_fixed_size 0
		.amdhsa_private_segment_fixed_size 0
		.amdhsa_kernarg_size 296
		.amdhsa_user_sgpr_count 2
		.amdhsa_user_sgpr_dispatch_ptr 0
		.amdhsa_user_sgpr_queue_ptr 0
		.amdhsa_user_sgpr_kernarg_segment_ptr 1
		.amdhsa_user_sgpr_dispatch_id 0
		.amdhsa_user_sgpr_kernarg_preload_length 0
		.amdhsa_user_sgpr_kernarg_preload_offset 0
		.amdhsa_user_sgpr_private_segment_size 0
		.amdhsa_wavefront_size32 1
		.amdhsa_uses_dynamic_stack 0
		.amdhsa_enable_private_segment 0
		.amdhsa_system_sgpr_workgroup_id_x 1
		.amdhsa_system_sgpr_workgroup_id_y 1
		.amdhsa_system_sgpr_workgroup_id_z 1
		.amdhsa_system_sgpr_workgroup_info 0
		.amdhsa_system_vgpr_workitem_id 1
		.amdhsa_next_free_vgpr 6
		.amdhsa_next_free_sgpr 17
		.amdhsa_named_barrier_count 0
		.amdhsa_reserve_vcc 1
		.amdhsa_float_round_mode_32 0
		.amdhsa_float_round_mode_16_64 0
		.amdhsa_float_denorm_mode_32 3
		.amdhsa_float_denorm_mode_16_64 3
		.amdhsa_fp16_overflow 0
		.amdhsa_memory_ordered 1
		.amdhsa_forward_progress 1
		.amdhsa_inst_pref_size 3
		.amdhsa_round_robin_scheduling 0
		.amdhsa_exception_fp_ieee_invalid_op 0
		.amdhsa_exception_fp_denorm_src 0
		.amdhsa_exception_fp_ieee_div_zero 0
		.amdhsa_exception_fp_ieee_overflow 0
		.amdhsa_exception_fp_ieee_underflow 0
		.amdhsa_exception_fp_ieee_inexact 0
		.amdhsa_exception_int_div_zero 0
	.end_amdhsa_kernel
	.section	.text._ZN9rocsolver6v33100L8addmatA1IdPdEEviiT0_iilPT_,"axG",@progbits,_ZN9rocsolver6v33100L8addmatA1IdPdEEviiT0_iilPT_,comdat
.Lfunc_end3:
	.size	_ZN9rocsolver6v33100L8addmatA1IdPdEEviiT0_iilPT_, .Lfunc_end3-_ZN9rocsolver6v33100L8addmatA1IdPdEEviiT0_iilPT_
                                        ; -- End function
	.set _ZN9rocsolver6v33100L8addmatA1IdPdEEviiT0_iilPT_.num_vgpr, 6
	.set _ZN9rocsolver6v33100L8addmatA1IdPdEEviiT0_iilPT_.num_agpr, 0
	.set _ZN9rocsolver6v33100L8addmatA1IdPdEEviiT0_iilPT_.numbered_sgpr, 17
	.set _ZN9rocsolver6v33100L8addmatA1IdPdEEviiT0_iilPT_.num_named_barrier, 0
	.set _ZN9rocsolver6v33100L8addmatA1IdPdEEviiT0_iilPT_.private_seg_size, 0
	.set _ZN9rocsolver6v33100L8addmatA1IdPdEEviiT0_iilPT_.uses_vcc, 1
	.set _ZN9rocsolver6v33100L8addmatA1IdPdEEviiT0_iilPT_.uses_flat_scratch, 0
	.set _ZN9rocsolver6v33100L8addmatA1IdPdEEviiT0_iilPT_.has_dyn_sized_stack, 0
	.set _ZN9rocsolver6v33100L8addmatA1IdPdEEviiT0_iilPT_.has_recursion, 0
	.set _ZN9rocsolver6v33100L8addmatA1IdPdEEviiT0_iilPT_.has_indirect_call, 0
	.section	.AMDGPU.csdata,"",@progbits
; Kernel info:
; codeLenInByte = 368
; TotalNumSgprs: 19
; NumVgprs: 6
; ScratchSize: 0
; MemoryBound: 0
; FloatMode: 240
; IeeeMode: 1
; LDSByteSize: 0 bytes/workgroup (compile time only)
; SGPRBlocks: 0
; VGPRBlocks: 0
; NumSGPRsForWavesPerEU: 19
; NumVGPRsForWavesPerEU: 6
; NamedBarCnt: 0
; Occupancy: 16
; WaveLimiterHint : 0
; COMPUTE_PGM_RSRC2:SCRATCH_EN: 0
; COMPUTE_PGM_RSRC2:USER_SGPR: 2
; COMPUTE_PGM_RSRC2:TRAP_HANDLER: 0
; COMPUTE_PGM_RSRC2:TGID_X_EN: 1
; COMPUTE_PGM_RSRC2:TGID_Y_EN: 1
; COMPUTE_PGM_RSRC2:TGID_Z_EN: 1
; COMPUTE_PGM_RSRC2:TIDIG_COMP_CNT: 1
	.section	.text._ZN9rocsolver6v33100L9copymatA1I19rocblas_complex_numIfEPS3_EEviiT0_iilPT_,"axG",@progbits,_ZN9rocsolver6v33100L9copymatA1I19rocblas_complex_numIfEPS3_EEviiT0_iilPT_,comdat
	.globl	_ZN9rocsolver6v33100L9copymatA1I19rocblas_complex_numIfEPS3_EEviiT0_iilPT_ ; -- Begin function _ZN9rocsolver6v33100L9copymatA1I19rocblas_complex_numIfEPS3_EEviiT0_iilPT_
	.p2align	8
	.type	_ZN9rocsolver6v33100L9copymatA1I19rocblas_complex_numIfEPS3_EEviiT0_iilPT_,@function
_ZN9rocsolver6v33100L9copymatA1I19rocblas_complex_numIfEPS3_EEviiT0_iilPT_: ; @_ZN9rocsolver6v33100L9copymatA1I19rocblas_complex_numIfEPS3_EEviiT0_iilPT_
; %bb.0:
	s_clause 0x1
	s_load_b32 s2, s[0:1], 0x34
	s_load_b64 s[12:13], s[0:1], 0x0
	s_bfe_u32 s4, ttmp6, 0x40010
	s_bfe_u32 s7, ttmp6, 0x4000c
	s_and_b32 s3, ttmp7, 0xffff
	s_add_co_i32 s4, s4, 1
	s_add_co_i32 s7, s7, 1
	s_bfe_u32 s5, ttmp6, 0x40004
	s_and_b32 s6, ttmp6, 15
	s_mul_i32 s4, s3, s4
	s_mul_i32 s7, ttmp9, s7
	s_getreg_b32 s14, hwreg(HW_REG_IB_STS2, 6, 4)
	v_and_b32_e32 v1, 0x3ff, v0
	v_bfe_u32 v0, v0, 10, 10
	s_add_co_i32 s5, s5, s4
	s_add_co_i32 s6, s6, s7
	s_wait_kmcnt 0x0
	s_lshr_b32 s4, s2, 16
	s_and_b32 s2, s2, 0xffff
	s_cmp_eq_u32 s14, 0
	s_cselect_b32 s3, s3, s5
	s_cselect_b32 s5, ttmp9, s6
	v_mad_u32 v0, s3, s4, v0
	v_mad_u32 v1, s5, s2, v1
	s_mov_b32 s3, 0
	s_delay_alu instid0(VALU_DEP_2) | instskip(NEXT) | instid1(VALU_DEP_2)
	v_cmp_gt_u32_e32 vcc_lo, s12, v0
	v_cmp_gt_u32_e64 s2, s13, v1
	s_and_b32 s2, s2, vcc_lo
	s_delay_alu instid0(SALU_CYCLE_1)
	s_and_saveexec_b32 s4, s2
	s_cbranch_execz .LBB4_2
; %bb.1:
	s_load_b256 s[4:11], s[0:1], 0x8
	s_wait_xcnt 0x0
	s_bfe_u32 s0, ttmp6, 0x40014
	s_lshr_b32 s2, ttmp7, 16
	s_add_co_i32 s0, s0, 1
	s_bfe_u32 s16, ttmp6, 0x40008
	s_mul_i32 s0, s2, s0
	s_ashr_i32 s1, s12, 31
	s_ashr_i32 s15, s13, 31
	s_add_co_i32 s16, s16, s0
	s_cmp_eq_u32 s14, 0
	s_mov_b32 s0, s12
	s_cselect_b32 s2, s2, s16
	s_mov_b32 s14, s13
	s_mul_u64 s[0:1], s[0:1], s[2:3]
	s_delay_alu instid0(SALU_CYCLE_1) | instskip(NEXT) | instid1(SALU_CYCLE_1)
	s_mul_u64 s[0:1], s[0:1], s[14:15]
	s_lshl_b64 s[0:1], s[0:1], 3
	s_wait_kmcnt 0x0
	v_mad_u32 v2, v1, s7, v0
	s_mul_u64 s[8:9], s[8:9], s[2:3]
	s_ashr_i32 s7, s6, 31
	s_lshl_b64 s[8:9], s[8:9], 3
	s_lshl_b64 s[6:7], s[6:7], 3
	s_add_nc_u64 s[4:5], s[4:5], s[8:9]
	v_mad_u32 v0, v1, s12, v0
	s_add_nc_u64 s[4:5], s[4:5], s[6:7]
	s_add_nc_u64 s[0:1], s[10:11], s[0:1]
	global_load_b64 v[2:3], v2, s[4:5] scale_offset
	s_wait_loadcnt 0x0
	global_store_b64 v0, v[2:3], s[0:1] scale_offset
.LBB4_2:
	s_endpgm
	.section	.rodata,"a",@progbits
	.p2align	6, 0x0
	.amdhsa_kernel _ZN9rocsolver6v33100L9copymatA1I19rocblas_complex_numIfEPS3_EEviiT0_iilPT_
		.amdhsa_group_segment_fixed_size 0
		.amdhsa_private_segment_fixed_size 0
		.amdhsa_kernarg_size 296
		.amdhsa_user_sgpr_count 2
		.amdhsa_user_sgpr_dispatch_ptr 0
		.amdhsa_user_sgpr_queue_ptr 0
		.amdhsa_user_sgpr_kernarg_segment_ptr 1
		.amdhsa_user_sgpr_dispatch_id 0
		.amdhsa_user_sgpr_kernarg_preload_length 0
		.amdhsa_user_sgpr_kernarg_preload_offset 0
		.amdhsa_user_sgpr_private_segment_size 0
		.amdhsa_wavefront_size32 1
		.amdhsa_uses_dynamic_stack 0
		.amdhsa_enable_private_segment 0
		.amdhsa_system_sgpr_workgroup_id_x 1
		.amdhsa_system_sgpr_workgroup_id_y 1
		.amdhsa_system_sgpr_workgroup_id_z 1
		.amdhsa_system_sgpr_workgroup_info 0
		.amdhsa_system_vgpr_workitem_id 1
		.amdhsa_next_free_vgpr 4
		.amdhsa_next_free_sgpr 17
		.amdhsa_named_barrier_count 0
		.amdhsa_reserve_vcc 1
		.amdhsa_float_round_mode_32 0
		.amdhsa_float_round_mode_16_64 0
		.amdhsa_float_denorm_mode_32 3
		.amdhsa_float_denorm_mode_16_64 3
		.amdhsa_fp16_overflow 0
		.amdhsa_memory_ordered 1
		.amdhsa_forward_progress 1
		.amdhsa_inst_pref_size 3
		.amdhsa_round_robin_scheduling 0
		.amdhsa_exception_fp_ieee_invalid_op 0
		.amdhsa_exception_fp_denorm_src 0
		.amdhsa_exception_fp_ieee_div_zero 0
		.amdhsa_exception_fp_ieee_overflow 0
		.amdhsa_exception_fp_ieee_underflow 0
		.amdhsa_exception_fp_ieee_inexact 0
		.amdhsa_exception_int_div_zero 0
	.end_amdhsa_kernel
	.section	.text._ZN9rocsolver6v33100L9copymatA1I19rocblas_complex_numIfEPS3_EEviiT0_iilPT_,"axG",@progbits,_ZN9rocsolver6v33100L9copymatA1I19rocblas_complex_numIfEPS3_EEviiT0_iilPT_,comdat
.Lfunc_end4:
	.size	_ZN9rocsolver6v33100L9copymatA1I19rocblas_complex_numIfEPS3_EEviiT0_iilPT_, .Lfunc_end4-_ZN9rocsolver6v33100L9copymatA1I19rocblas_complex_numIfEPS3_EEviiT0_iilPT_
                                        ; -- End function
	.set _ZN9rocsolver6v33100L9copymatA1I19rocblas_complex_numIfEPS3_EEviiT0_iilPT_.num_vgpr, 4
	.set _ZN9rocsolver6v33100L9copymatA1I19rocblas_complex_numIfEPS3_EEviiT0_iilPT_.num_agpr, 0
	.set _ZN9rocsolver6v33100L9copymatA1I19rocblas_complex_numIfEPS3_EEviiT0_iilPT_.numbered_sgpr, 17
	.set _ZN9rocsolver6v33100L9copymatA1I19rocblas_complex_numIfEPS3_EEviiT0_iilPT_.num_named_barrier, 0
	.set _ZN9rocsolver6v33100L9copymatA1I19rocblas_complex_numIfEPS3_EEviiT0_iilPT_.private_seg_size, 0
	.set _ZN9rocsolver6v33100L9copymatA1I19rocblas_complex_numIfEPS3_EEviiT0_iilPT_.uses_vcc, 1
	.set _ZN9rocsolver6v33100L9copymatA1I19rocblas_complex_numIfEPS3_EEviiT0_iilPT_.uses_flat_scratch, 0
	.set _ZN9rocsolver6v33100L9copymatA1I19rocblas_complex_numIfEPS3_EEviiT0_iilPT_.has_dyn_sized_stack, 0
	.set _ZN9rocsolver6v33100L9copymatA1I19rocblas_complex_numIfEPS3_EEviiT0_iilPT_.has_recursion, 0
	.set _ZN9rocsolver6v33100L9copymatA1I19rocblas_complex_numIfEPS3_EEviiT0_iilPT_.has_indirect_call, 0
	.section	.AMDGPU.csdata,"",@progbits
; Kernel info:
; codeLenInByte = 344
; TotalNumSgprs: 19
; NumVgprs: 4
; ScratchSize: 0
; MemoryBound: 0
; FloatMode: 240
; IeeeMode: 1
; LDSByteSize: 0 bytes/workgroup (compile time only)
; SGPRBlocks: 0
; VGPRBlocks: 0
; NumSGPRsForWavesPerEU: 19
; NumVGPRsForWavesPerEU: 4
; NamedBarCnt: 0
; Occupancy: 16
; WaveLimiterHint : 0
; COMPUTE_PGM_RSRC2:SCRATCH_EN: 0
; COMPUTE_PGM_RSRC2:USER_SGPR: 2
; COMPUTE_PGM_RSRC2:TRAP_HANDLER: 0
; COMPUTE_PGM_RSRC2:TGID_X_EN: 1
; COMPUTE_PGM_RSRC2:TGID_Y_EN: 1
; COMPUTE_PGM_RSRC2:TGID_Z_EN: 1
; COMPUTE_PGM_RSRC2:TIDIG_COMP_CNT: 1
	.section	.text._ZN9rocsolver6v33100L8addmatA1I19rocblas_complex_numIfEPS3_EEviiT0_iilPT_,"axG",@progbits,_ZN9rocsolver6v33100L8addmatA1I19rocblas_complex_numIfEPS3_EEviiT0_iilPT_,comdat
	.globl	_ZN9rocsolver6v33100L8addmatA1I19rocblas_complex_numIfEPS3_EEviiT0_iilPT_ ; -- Begin function _ZN9rocsolver6v33100L8addmatA1I19rocblas_complex_numIfEPS3_EEviiT0_iilPT_
	.p2align	8
	.type	_ZN9rocsolver6v33100L8addmatA1I19rocblas_complex_numIfEPS3_EEviiT0_iilPT_,@function
_ZN9rocsolver6v33100L8addmatA1I19rocblas_complex_numIfEPS3_EEviiT0_iilPT_: ; @_ZN9rocsolver6v33100L8addmatA1I19rocblas_complex_numIfEPS3_EEviiT0_iilPT_
; %bb.0:
	s_clause 0x1
	s_load_b32 s2, s[0:1], 0x34
	s_load_b64 s[12:13], s[0:1], 0x0
	s_bfe_u32 s4, ttmp6, 0x40010
	s_bfe_u32 s7, ttmp6, 0x4000c
	s_and_b32 s3, ttmp7, 0xffff
	s_add_co_i32 s4, s4, 1
	s_add_co_i32 s7, s7, 1
	s_bfe_u32 s5, ttmp6, 0x40004
	s_and_b32 s6, ttmp6, 15
	s_mul_i32 s4, s3, s4
	s_mul_i32 s7, ttmp9, s7
	s_getreg_b32 s14, hwreg(HW_REG_IB_STS2, 6, 4)
	v_and_b32_e32 v1, 0x3ff, v0
	v_bfe_u32 v0, v0, 10, 10
	s_add_co_i32 s5, s5, s4
	s_add_co_i32 s6, s6, s7
	s_wait_kmcnt 0x0
	s_lshr_b32 s4, s2, 16
	s_and_b32 s2, s2, 0xffff
	s_cmp_eq_u32 s14, 0
	s_cselect_b32 s3, s3, s5
	s_cselect_b32 s5, ttmp9, s6
	v_mad_u32 v0, s3, s4, v0
	v_mad_u32 v1, s5, s2, v1
	s_mov_b32 s3, 0
	s_delay_alu instid0(VALU_DEP_2) | instskip(NEXT) | instid1(VALU_DEP_2)
	v_cmp_gt_u32_e32 vcc_lo, s12, v0
	v_cmp_gt_u32_e64 s2, s13, v1
	s_and_b32 s2, s2, vcc_lo
	s_delay_alu instid0(SALU_CYCLE_1)
	s_and_saveexec_b32 s4, s2
	s_cbranch_execz .LBB5_2
; %bb.1:
	s_load_b256 s[4:11], s[0:1], 0x8
	s_wait_xcnt 0x0
	s_bfe_u32 s0, ttmp6, 0x40014
	s_lshr_b32 s2, ttmp7, 16
	s_add_co_i32 s0, s0, 1
	s_bfe_u32 s16, ttmp6, 0x40008
	s_mul_i32 s0, s2, s0
	s_ashr_i32 s1, s12, 31
	s_ashr_i32 s15, s13, 31
	s_add_co_i32 s16, s16, s0
	s_cmp_eq_u32 s14, 0
	v_mad_u32 v4, v1, s12, v0
	s_mov_b32 s0, s12
	s_cselect_b32 s2, s2, s16
	s_mov_b32 s14, s13
	s_mul_u64 s[0:1], s[0:1], s[2:3]
	s_delay_alu instid0(SALU_CYCLE_1) | instskip(NEXT) | instid1(SALU_CYCLE_1)
	s_mul_u64 s[0:1], s[0:1], s[14:15]
	s_lshl_b64 s[0:1], s[0:1], 3
	s_wait_kmcnt 0x0
	v_mad_u32 v5, v1, s7, v0
	s_mul_u64 s[2:3], s[8:9], s[2:3]
	s_ashr_i32 s7, s6, 31
	s_lshl_b64 s[2:3], s[2:3], 3
	s_add_nc_u64 s[0:1], s[10:11], s[0:1]
	s_add_nc_u64 s[2:3], s[4:5], s[2:3]
	s_lshl_b64 s[4:5], s[6:7], 3
	s_delay_alu instid0(SALU_CYCLE_1)
	s_add_nc_u64 s[2:3], s[2:3], s[4:5]
	global_load_b64 v[0:1], v4, s[0:1] scale_offset
	global_load_b64 v[2:3], v5, s[2:3] scale_offset
	s_wait_loadcnt 0x0
	v_pk_add_f32 v[0:1], v[2:3], v[0:1] neg_lo:[0,1] neg_hi:[0,1]
	global_store_b64 v5, v[0:1], s[2:3] scale_offset
.LBB5_2:
	s_endpgm
	.section	.rodata,"a",@progbits
	.p2align	6, 0x0
	.amdhsa_kernel _ZN9rocsolver6v33100L8addmatA1I19rocblas_complex_numIfEPS3_EEviiT0_iilPT_
		.amdhsa_group_segment_fixed_size 0
		.amdhsa_private_segment_fixed_size 0
		.amdhsa_kernarg_size 296
		.amdhsa_user_sgpr_count 2
		.amdhsa_user_sgpr_dispatch_ptr 0
		.amdhsa_user_sgpr_queue_ptr 0
		.amdhsa_user_sgpr_kernarg_segment_ptr 1
		.amdhsa_user_sgpr_dispatch_id 0
		.amdhsa_user_sgpr_kernarg_preload_length 0
		.amdhsa_user_sgpr_kernarg_preload_offset 0
		.amdhsa_user_sgpr_private_segment_size 0
		.amdhsa_wavefront_size32 1
		.amdhsa_uses_dynamic_stack 0
		.amdhsa_enable_private_segment 0
		.amdhsa_system_sgpr_workgroup_id_x 1
		.amdhsa_system_sgpr_workgroup_id_y 1
		.amdhsa_system_sgpr_workgroup_id_z 1
		.amdhsa_system_sgpr_workgroup_info 0
		.amdhsa_system_vgpr_workitem_id 1
		.amdhsa_next_free_vgpr 6
		.amdhsa_next_free_sgpr 17
		.amdhsa_named_barrier_count 0
		.amdhsa_reserve_vcc 1
		.amdhsa_float_round_mode_32 0
		.amdhsa_float_round_mode_16_64 0
		.amdhsa_float_denorm_mode_32 3
		.amdhsa_float_denorm_mode_16_64 3
		.amdhsa_fp16_overflow 0
		.amdhsa_memory_ordered 1
		.amdhsa_forward_progress 1
		.amdhsa_inst_pref_size 3
		.amdhsa_round_robin_scheduling 0
		.amdhsa_exception_fp_ieee_invalid_op 0
		.amdhsa_exception_fp_denorm_src 0
		.amdhsa_exception_fp_ieee_div_zero 0
		.amdhsa_exception_fp_ieee_overflow 0
		.amdhsa_exception_fp_ieee_underflow 0
		.amdhsa_exception_fp_ieee_inexact 0
		.amdhsa_exception_int_div_zero 0
	.end_amdhsa_kernel
	.section	.text._ZN9rocsolver6v33100L8addmatA1I19rocblas_complex_numIfEPS3_EEviiT0_iilPT_,"axG",@progbits,_ZN9rocsolver6v33100L8addmatA1I19rocblas_complex_numIfEPS3_EEviiT0_iilPT_,comdat
.Lfunc_end5:
	.size	_ZN9rocsolver6v33100L8addmatA1I19rocblas_complex_numIfEPS3_EEviiT0_iilPT_, .Lfunc_end5-_ZN9rocsolver6v33100L8addmatA1I19rocblas_complex_numIfEPS3_EEviiT0_iilPT_
                                        ; -- End function
	.set _ZN9rocsolver6v33100L8addmatA1I19rocblas_complex_numIfEPS3_EEviiT0_iilPT_.num_vgpr, 6
	.set _ZN9rocsolver6v33100L8addmatA1I19rocblas_complex_numIfEPS3_EEviiT0_iilPT_.num_agpr, 0
	.set _ZN9rocsolver6v33100L8addmatA1I19rocblas_complex_numIfEPS3_EEviiT0_iilPT_.numbered_sgpr, 17
	.set _ZN9rocsolver6v33100L8addmatA1I19rocblas_complex_numIfEPS3_EEviiT0_iilPT_.num_named_barrier, 0
	.set _ZN9rocsolver6v33100L8addmatA1I19rocblas_complex_numIfEPS3_EEviiT0_iilPT_.private_seg_size, 0
	.set _ZN9rocsolver6v33100L8addmatA1I19rocblas_complex_numIfEPS3_EEviiT0_iilPT_.uses_vcc, 1
	.set _ZN9rocsolver6v33100L8addmatA1I19rocblas_complex_numIfEPS3_EEviiT0_iilPT_.uses_flat_scratch, 0
	.set _ZN9rocsolver6v33100L8addmatA1I19rocblas_complex_numIfEPS3_EEviiT0_iilPT_.has_dyn_sized_stack, 0
	.set _ZN9rocsolver6v33100L8addmatA1I19rocblas_complex_numIfEPS3_EEviiT0_iilPT_.has_recursion, 0
	.set _ZN9rocsolver6v33100L8addmatA1I19rocblas_complex_numIfEPS3_EEviiT0_iilPT_.has_indirect_call, 0
	.section	.AMDGPU.csdata,"",@progbits
; Kernel info:
; codeLenInByte = 368
; TotalNumSgprs: 19
; NumVgprs: 6
; ScratchSize: 0
; MemoryBound: 0
; FloatMode: 240
; IeeeMode: 1
; LDSByteSize: 0 bytes/workgroup (compile time only)
; SGPRBlocks: 0
; VGPRBlocks: 0
; NumSGPRsForWavesPerEU: 19
; NumVGPRsForWavesPerEU: 6
; NamedBarCnt: 0
; Occupancy: 16
; WaveLimiterHint : 0
; COMPUTE_PGM_RSRC2:SCRATCH_EN: 0
; COMPUTE_PGM_RSRC2:USER_SGPR: 2
; COMPUTE_PGM_RSRC2:TRAP_HANDLER: 0
; COMPUTE_PGM_RSRC2:TGID_X_EN: 1
; COMPUTE_PGM_RSRC2:TGID_Y_EN: 1
; COMPUTE_PGM_RSRC2:TGID_Z_EN: 1
; COMPUTE_PGM_RSRC2:TIDIG_COMP_CNT: 1
	.section	.text._ZN9rocsolver6v33100L9copymatA1I19rocblas_complex_numIdEPS3_EEviiT0_iilPT_,"axG",@progbits,_ZN9rocsolver6v33100L9copymatA1I19rocblas_complex_numIdEPS3_EEviiT0_iilPT_,comdat
	.globl	_ZN9rocsolver6v33100L9copymatA1I19rocblas_complex_numIdEPS3_EEviiT0_iilPT_ ; -- Begin function _ZN9rocsolver6v33100L9copymatA1I19rocblas_complex_numIdEPS3_EEviiT0_iilPT_
	.p2align	8
	.type	_ZN9rocsolver6v33100L9copymatA1I19rocblas_complex_numIdEPS3_EEviiT0_iilPT_,@function
_ZN9rocsolver6v33100L9copymatA1I19rocblas_complex_numIdEPS3_EEviiT0_iilPT_: ; @_ZN9rocsolver6v33100L9copymatA1I19rocblas_complex_numIdEPS3_EEviiT0_iilPT_
; %bb.0:
	s_clause 0x1
	s_load_b32 s2, s[0:1], 0x34
	s_load_b64 s[12:13], s[0:1], 0x0
	s_bfe_u32 s4, ttmp6, 0x40010
	s_bfe_u32 s7, ttmp6, 0x4000c
	s_and_b32 s3, ttmp7, 0xffff
	s_add_co_i32 s4, s4, 1
	s_add_co_i32 s7, s7, 1
	s_bfe_u32 s5, ttmp6, 0x40004
	s_and_b32 s6, ttmp6, 15
	s_mul_i32 s4, s3, s4
	s_mul_i32 s7, ttmp9, s7
	s_getreg_b32 s14, hwreg(HW_REG_IB_STS2, 6, 4)
	v_and_b32_e32 v1, 0x3ff, v0
	v_bfe_u32 v0, v0, 10, 10
	s_add_co_i32 s5, s5, s4
	s_add_co_i32 s6, s6, s7
	s_wait_kmcnt 0x0
	s_lshr_b32 s4, s2, 16
	s_and_b32 s2, s2, 0xffff
	s_cmp_eq_u32 s14, 0
	s_cselect_b32 s3, s3, s5
	s_cselect_b32 s5, ttmp9, s6
	v_mad_u32 v0, s3, s4, v0
	v_mad_u32 v1, s5, s2, v1
	s_mov_b32 s3, 0
	s_delay_alu instid0(VALU_DEP_2) | instskip(NEXT) | instid1(VALU_DEP_2)
	v_cmp_gt_u32_e32 vcc_lo, s12, v0
	v_cmp_gt_u32_e64 s2, s13, v1
	s_and_b32 s2, s2, vcc_lo
	s_delay_alu instid0(SALU_CYCLE_1)
	s_and_saveexec_b32 s4, s2
	s_cbranch_execz .LBB6_2
; %bb.1:
	s_load_b256 s[4:11], s[0:1], 0x8
	s_wait_xcnt 0x0
	s_bfe_u32 s0, ttmp6, 0x40014
	s_lshr_b32 s2, ttmp7, 16
	s_add_co_i32 s0, s0, 1
	s_bfe_u32 s16, ttmp6, 0x40008
	s_mul_i32 s0, s2, s0
	s_ashr_i32 s1, s12, 31
	s_ashr_i32 s15, s13, 31
	s_add_co_i32 s16, s16, s0
	s_cmp_eq_u32 s14, 0
	s_mov_b32 s0, s12
	s_cselect_b32 s2, s2, s16
	s_mov_b32 s14, s13
	s_mul_u64 s[0:1], s[0:1], s[2:3]
	s_delay_alu instid0(SALU_CYCLE_1) | instskip(NEXT) | instid1(SALU_CYCLE_1)
	s_mul_u64 s[0:1], s[0:1], s[14:15]
	s_lshl_b64 s[0:1], s[0:1], 4
	s_wait_kmcnt 0x0
	v_mad_u32 v2, v1, s7, v0
	s_mul_u64 s[8:9], s[8:9], s[2:3]
	s_ashr_i32 s7, s6, 31
	s_lshl_b64 s[8:9], s[8:9], 4
	s_lshl_b64 s[6:7], s[6:7], 4
	s_add_nc_u64 s[4:5], s[4:5], s[8:9]
	v_mad_u32 v0, v1, s12, v0
	s_add_nc_u64 s[4:5], s[4:5], s[6:7]
	s_add_nc_u64 s[0:1], s[10:11], s[0:1]
	global_load_b128 v[2:5], v2, s[4:5] scale_offset
	s_wait_loadcnt 0x0
	global_store_b128 v0, v[2:5], s[0:1] scale_offset
.LBB6_2:
	s_endpgm
	.section	.rodata,"a",@progbits
	.p2align	6, 0x0
	.amdhsa_kernel _ZN9rocsolver6v33100L9copymatA1I19rocblas_complex_numIdEPS3_EEviiT0_iilPT_
		.amdhsa_group_segment_fixed_size 0
		.amdhsa_private_segment_fixed_size 0
		.amdhsa_kernarg_size 296
		.amdhsa_user_sgpr_count 2
		.amdhsa_user_sgpr_dispatch_ptr 0
		.amdhsa_user_sgpr_queue_ptr 0
		.amdhsa_user_sgpr_kernarg_segment_ptr 1
		.amdhsa_user_sgpr_dispatch_id 0
		.amdhsa_user_sgpr_kernarg_preload_length 0
		.amdhsa_user_sgpr_kernarg_preload_offset 0
		.amdhsa_user_sgpr_private_segment_size 0
		.amdhsa_wavefront_size32 1
		.amdhsa_uses_dynamic_stack 0
		.amdhsa_enable_private_segment 0
		.amdhsa_system_sgpr_workgroup_id_x 1
		.amdhsa_system_sgpr_workgroup_id_y 1
		.amdhsa_system_sgpr_workgroup_id_z 1
		.amdhsa_system_sgpr_workgroup_info 0
		.amdhsa_system_vgpr_workitem_id 1
		.amdhsa_next_free_vgpr 6
		.amdhsa_next_free_sgpr 17
		.amdhsa_named_barrier_count 0
		.amdhsa_reserve_vcc 1
		.amdhsa_float_round_mode_32 0
		.amdhsa_float_round_mode_16_64 0
		.amdhsa_float_denorm_mode_32 3
		.amdhsa_float_denorm_mode_16_64 3
		.amdhsa_fp16_overflow 0
		.amdhsa_memory_ordered 1
		.amdhsa_forward_progress 1
		.amdhsa_inst_pref_size 3
		.amdhsa_round_robin_scheduling 0
		.amdhsa_exception_fp_ieee_invalid_op 0
		.amdhsa_exception_fp_denorm_src 0
		.amdhsa_exception_fp_ieee_div_zero 0
		.amdhsa_exception_fp_ieee_overflow 0
		.amdhsa_exception_fp_ieee_underflow 0
		.amdhsa_exception_fp_ieee_inexact 0
		.amdhsa_exception_int_div_zero 0
	.end_amdhsa_kernel
	.section	.text._ZN9rocsolver6v33100L9copymatA1I19rocblas_complex_numIdEPS3_EEviiT0_iilPT_,"axG",@progbits,_ZN9rocsolver6v33100L9copymatA1I19rocblas_complex_numIdEPS3_EEviiT0_iilPT_,comdat
.Lfunc_end6:
	.size	_ZN9rocsolver6v33100L9copymatA1I19rocblas_complex_numIdEPS3_EEviiT0_iilPT_, .Lfunc_end6-_ZN9rocsolver6v33100L9copymatA1I19rocblas_complex_numIdEPS3_EEviiT0_iilPT_
                                        ; -- End function
	.set _ZN9rocsolver6v33100L9copymatA1I19rocblas_complex_numIdEPS3_EEviiT0_iilPT_.num_vgpr, 6
	.set _ZN9rocsolver6v33100L9copymatA1I19rocblas_complex_numIdEPS3_EEviiT0_iilPT_.num_agpr, 0
	.set _ZN9rocsolver6v33100L9copymatA1I19rocblas_complex_numIdEPS3_EEviiT0_iilPT_.numbered_sgpr, 17
	.set _ZN9rocsolver6v33100L9copymatA1I19rocblas_complex_numIdEPS3_EEviiT0_iilPT_.num_named_barrier, 0
	.set _ZN9rocsolver6v33100L9copymatA1I19rocblas_complex_numIdEPS3_EEviiT0_iilPT_.private_seg_size, 0
	.set _ZN9rocsolver6v33100L9copymatA1I19rocblas_complex_numIdEPS3_EEviiT0_iilPT_.uses_vcc, 1
	.set _ZN9rocsolver6v33100L9copymatA1I19rocblas_complex_numIdEPS3_EEviiT0_iilPT_.uses_flat_scratch, 0
	.set _ZN9rocsolver6v33100L9copymatA1I19rocblas_complex_numIdEPS3_EEviiT0_iilPT_.has_dyn_sized_stack, 0
	.set _ZN9rocsolver6v33100L9copymatA1I19rocblas_complex_numIdEPS3_EEviiT0_iilPT_.has_recursion, 0
	.set _ZN9rocsolver6v33100L9copymatA1I19rocblas_complex_numIdEPS3_EEviiT0_iilPT_.has_indirect_call, 0
	.section	.AMDGPU.csdata,"",@progbits
; Kernel info:
; codeLenInByte = 344
; TotalNumSgprs: 19
; NumVgprs: 6
; ScratchSize: 0
; MemoryBound: 0
; FloatMode: 240
; IeeeMode: 1
; LDSByteSize: 0 bytes/workgroup (compile time only)
; SGPRBlocks: 0
; VGPRBlocks: 0
; NumSGPRsForWavesPerEU: 19
; NumVGPRsForWavesPerEU: 6
; NamedBarCnt: 0
; Occupancy: 16
; WaveLimiterHint : 0
; COMPUTE_PGM_RSRC2:SCRATCH_EN: 0
; COMPUTE_PGM_RSRC2:USER_SGPR: 2
; COMPUTE_PGM_RSRC2:TRAP_HANDLER: 0
; COMPUTE_PGM_RSRC2:TGID_X_EN: 1
; COMPUTE_PGM_RSRC2:TGID_Y_EN: 1
; COMPUTE_PGM_RSRC2:TGID_Z_EN: 1
; COMPUTE_PGM_RSRC2:TIDIG_COMP_CNT: 1
	.section	.text._ZN9rocsolver6v33100L8addmatA1I19rocblas_complex_numIdEPS3_EEviiT0_iilPT_,"axG",@progbits,_ZN9rocsolver6v33100L8addmatA1I19rocblas_complex_numIdEPS3_EEviiT0_iilPT_,comdat
	.globl	_ZN9rocsolver6v33100L8addmatA1I19rocblas_complex_numIdEPS3_EEviiT0_iilPT_ ; -- Begin function _ZN9rocsolver6v33100L8addmatA1I19rocblas_complex_numIdEPS3_EEviiT0_iilPT_
	.p2align	8
	.type	_ZN9rocsolver6v33100L8addmatA1I19rocblas_complex_numIdEPS3_EEviiT0_iilPT_,@function
_ZN9rocsolver6v33100L8addmatA1I19rocblas_complex_numIdEPS3_EEviiT0_iilPT_: ; @_ZN9rocsolver6v33100L8addmatA1I19rocblas_complex_numIdEPS3_EEviiT0_iilPT_
; %bb.0:
	s_clause 0x1
	s_load_b32 s2, s[0:1], 0x34
	s_load_b64 s[12:13], s[0:1], 0x0
	s_bfe_u32 s4, ttmp6, 0x40010
	s_bfe_u32 s7, ttmp6, 0x4000c
	s_and_b32 s3, ttmp7, 0xffff
	s_add_co_i32 s4, s4, 1
	s_add_co_i32 s7, s7, 1
	s_bfe_u32 s5, ttmp6, 0x40004
	s_and_b32 s6, ttmp6, 15
	s_mul_i32 s4, s3, s4
	s_mul_i32 s7, ttmp9, s7
	s_getreg_b32 s14, hwreg(HW_REG_IB_STS2, 6, 4)
	v_and_b32_e32 v1, 0x3ff, v0
	v_bfe_u32 v0, v0, 10, 10
	s_add_co_i32 s5, s5, s4
	s_add_co_i32 s6, s6, s7
	s_wait_kmcnt 0x0
	s_lshr_b32 s4, s2, 16
	s_and_b32 s2, s2, 0xffff
	s_cmp_eq_u32 s14, 0
	s_cselect_b32 s3, s3, s5
	s_cselect_b32 s5, ttmp9, s6
	v_mad_u32 v0, s3, s4, v0
	v_mad_u32 v1, s5, s2, v1
	s_mov_b32 s3, 0
	s_delay_alu instid0(VALU_DEP_2) | instskip(NEXT) | instid1(VALU_DEP_2)
	v_cmp_gt_u32_e32 vcc_lo, s12, v0
	v_cmp_gt_u32_e64 s2, s13, v1
	s_and_b32 s2, s2, vcc_lo
	s_delay_alu instid0(SALU_CYCLE_1)
	s_and_saveexec_b32 s4, s2
	s_cbranch_execz .LBB7_2
; %bb.1:
	s_load_b256 s[4:11], s[0:1], 0x8
	s_wait_xcnt 0x0
	s_bfe_u32 s0, ttmp6, 0x40014
	s_lshr_b32 s2, ttmp7, 16
	s_add_co_i32 s0, s0, 1
	s_bfe_u32 s16, ttmp6, 0x40008
	s_mul_i32 s0, s2, s0
	s_ashr_i32 s1, s12, 31
	s_ashr_i32 s15, s13, 31
	s_add_co_i32 s16, s16, s0
	s_cmp_eq_u32 s14, 0
	v_mad_u32 v8, v1, s12, v0
	s_mov_b32 s0, s12
	s_cselect_b32 s2, s2, s16
	s_mov_b32 s14, s13
	s_mul_u64 s[0:1], s[0:1], s[2:3]
	s_delay_alu instid0(SALU_CYCLE_1) | instskip(NEXT) | instid1(SALU_CYCLE_1)
	s_mul_u64 s[0:1], s[0:1], s[14:15]
	s_lshl_b64 s[0:1], s[0:1], 4
	s_wait_kmcnt 0x0
	v_mad_u32 v9, v1, s7, v0
	s_mul_u64 s[2:3], s[8:9], s[2:3]
	s_ashr_i32 s7, s6, 31
	s_lshl_b64 s[2:3], s[2:3], 4
	s_lshl_b64 s[6:7], s[6:7], 4
	s_add_nc_u64 s[2:3], s[4:5], s[2:3]
	s_add_nc_u64 s[0:1], s[10:11], s[0:1]
	;; [unrolled: 1-line block ×3, first 2 shown]
	global_load_b128 v[0:3], v8, s[0:1] scale_offset
	global_load_b128 v[4:7], v9, s[2:3] scale_offset
	s_wait_loadcnt 0x0
	v_add_f64_e64 v[0:1], v[4:5], -v[0:1]
	v_add_f64_e64 v[2:3], v[6:7], -v[2:3]
	global_store_b128 v9, v[0:3], s[2:3] scale_offset
.LBB7_2:
	s_endpgm
	.section	.rodata,"a",@progbits
	.p2align	6, 0x0
	.amdhsa_kernel _ZN9rocsolver6v33100L8addmatA1I19rocblas_complex_numIdEPS3_EEviiT0_iilPT_
		.amdhsa_group_segment_fixed_size 0
		.amdhsa_private_segment_fixed_size 0
		.amdhsa_kernarg_size 296
		.amdhsa_user_sgpr_count 2
		.amdhsa_user_sgpr_dispatch_ptr 0
		.amdhsa_user_sgpr_queue_ptr 0
		.amdhsa_user_sgpr_kernarg_segment_ptr 1
		.amdhsa_user_sgpr_dispatch_id 0
		.amdhsa_user_sgpr_kernarg_preload_length 0
		.amdhsa_user_sgpr_kernarg_preload_offset 0
		.amdhsa_user_sgpr_private_segment_size 0
		.amdhsa_wavefront_size32 1
		.amdhsa_uses_dynamic_stack 0
		.amdhsa_enable_private_segment 0
		.amdhsa_system_sgpr_workgroup_id_x 1
		.amdhsa_system_sgpr_workgroup_id_y 1
		.amdhsa_system_sgpr_workgroup_id_z 1
		.amdhsa_system_sgpr_workgroup_info 0
		.amdhsa_system_vgpr_workitem_id 1
		.amdhsa_next_free_vgpr 10
		.amdhsa_next_free_sgpr 17
		.amdhsa_named_barrier_count 0
		.amdhsa_reserve_vcc 1
		.amdhsa_float_round_mode_32 0
		.amdhsa_float_round_mode_16_64 0
		.amdhsa_float_denorm_mode_32 3
		.amdhsa_float_denorm_mode_16_64 3
		.amdhsa_fp16_overflow 0
		.amdhsa_memory_ordered 1
		.amdhsa_forward_progress 1
		.amdhsa_inst_pref_size 3
		.amdhsa_round_robin_scheduling 0
		.amdhsa_exception_fp_ieee_invalid_op 0
		.amdhsa_exception_fp_denorm_src 0
		.amdhsa_exception_fp_ieee_div_zero 0
		.amdhsa_exception_fp_ieee_overflow 0
		.amdhsa_exception_fp_ieee_underflow 0
		.amdhsa_exception_fp_ieee_inexact 0
		.amdhsa_exception_int_div_zero 0
	.end_amdhsa_kernel
	.section	.text._ZN9rocsolver6v33100L8addmatA1I19rocblas_complex_numIdEPS3_EEviiT0_iilPT_,"axG",@progbits,_ZN9rocsolver6v33100L8addmatA1I19rocblas_complex_numIdEPS3_EEviiT0_iilPT_,comdat
.Lfunc_end7:
	.size	_ZN9rocsolver6v33100L8addmatA1I19rocblas_complex_numIdEPS3_EEviiT0_iilPT_, .Lfunc_end7-_ZN9rocsolver6v33100L8addmatA1I19rocblas_complex_numIdEPS3_EEviiT0_iilPT_
                                        ; -- End function
	.set _ZN9rocsolver6v33100L8addmatA1I19rocblas_complex_numIdEPS3_EEviiT0_iilPT_.num_vgpr, 10
	.set _ZN9rocsolver6v33100L8addmatA1I19rocblas_complex_numIdEPS3_EEviiT0_iilPT_.num_agpr, 0
	.set _ZN9rocsolver6v33100L8addmatA1I19rocblas_complex_numIdEPS3_EEviiT0_iilPT_.numbered_sgpr, 17
	.set _ZN9rocsolver6v33100L8addmatA1I19rocblas_complex_numIdEPS3_EEviiT0_iilPT_.num_named_barrier, 0
	.set _ZN9rocsolver6v33100L8addmatA1I19rocblas_complex_numIdEPS3_EEviiT0_iilPT_.private_seg_size, 0
	.set _ZN9rocsolver6v33100L8addmatA1I19rocblas_complex_numIdEPS3_EEviiT0_iilPT_.uses_vcc, 1
	.set _ZN9rocsolver6v33100L8addmatA1I19rocblas_complex_numIdEPS3_EEviiT0_iilPT_.uses_flat_scratch, 0
	.set _ZN9rocsolver6v33100L8addmatA1I19rocblas_complex_numIdEPS3_EEviiT0_iilPT_.has_dyn_sized_stack, 0
	.set _ZN9rocsolver6v33100L8addmatA1I19rocblas_complex_numIdEPS3_EEviiT0_iilPT_.has_recursion, 0
	.set _ZN9rocsolver6v33100L8addmatA1I19rocblas_complex_numIdEPS3_EEviiT0_iilPT_.has_indirect_call, 0
	.section	.AMDGPU.csdata,"",@progbits
; Kernel info:
; codeLenInByte = 372
; TotalNumSgprs: 19
; NumVgprs: 10
; ScratchSize: 0
; MemoryBound: 0
; FloatMode: 240
; IeeeMode: 1
; LDSByteSize: 0 bytes/workgroup (compile time only)
; SGPRBlocks: 0
; VGPRBlocks: 0
; NumSGPRsForWavesPerEU: 19
; NumVGPRsForWavesPerEU: 10
; NamedBarCnt: 0
; Occupancy: 16
; WaveLimiterHint : 0
; COMPUTE_PGM_RSRC2:SCRATCH_EN: 0
; COMPUTE_PGM_RSRC2:USER_SGPR: 2
; COMPUTE_PGM_RSRC2:TRAP_HANDLER: 0
; COMPUTE_PGM_RSRC2:TGID_X_EN: 1
; COMPUTE_PGM_RSRC2:TGID_Y_EN: 1
; COMPUTE_PGM_RSRC2:TGID_Z_EN: 1
; COMPUTE_PGM_RSRC2:TIDIG_COMP_CNT: 1
	.section	.AMDGPU.gpr_maximums,"",@progbits
	.set amdgpu.max_num_vgpr, 0
	.set amdgpu.max_num_agpr, 0
	.set amdgpu.max_num_sgpr, 0
	.section	.AMDGPU.csdata,"",@progbits
	.type	__hip_cuid_8734a6e7289608b9,@object ; @__hip_cuid_8734a6e7289608b9
	.section	.bss,"aw",@nobits
	.globl	__hip_cuid_8734a6e7289608b9
__hip_cuid_8734a6e7289608b9:
	.byte	0                               ; 0x0
	.size	__hip_cuid_8734a6e7289608b9, 1

	.ident	"AMD clang version 22.0.0git (https://github.com/RadeonOpenCompute/llvm-project roc-7.2.4 26084 f58b06dce1f9c15707c5f808fd002e18c2accf7e)"
	.section	".note.GNU-stack","",@progbits
	.addrsig
	.addrsig_sym __hip_cuid_8734a6e7289608b9
	.amdgpu_metadata
---
amdhsa.kernels:
  - .args:
      - .offset:         0
        .size:           4
        .value_kind:     by_value
      - .offset:         4
        .size:           4
        .value_kind:     by_value
      - .address_space:  global
        .offset:         8
        .size:           8
        .value_kind:     global_buffer
      - .offset:         16
        .size:           4
        .value_kind:     by_value
      - .offset:         20
        .size:           4
        .value_kind:     by_value
      - .offset:         24
        .size:           8
        .value_kind:     by_value
      - .address_space:  global
        .offset:         32
        .size:           8
        .value_kind:     global_buffer
      - .offset:         40
        .size:           4
        .value_kind:     hidden_block_count_x
      - .offset:         44
        .size:           4
        .value_kind:     hidden_block_count_y
      - .offset:         48
        .size:           4
        .value_kind:     hidden_block_count_z
      - .offset:         52
        .size:           2
        .value_kind:     hidden_group_size_x
      - .offset:         54
        .size:           2
        .value_kind:     hidden_group_size_y
      - .offset:         56
        .size:           2
        .value_kind:     hidden_group_size_z
      - .offset:         58
        .size:           2
        .value_kind:     hidden_remainder_x
      - .offset:         60
        .size:           2
        .value_kind:     hidden_remainder_y
      - .offset:         62
        .size:           2
        .value_kind:     hidden_remainder_z
      - .offset:         80
        .size:           8
        .value_kind:     hidden_global_offset_x
      - .offset:         88
        .size:           8
        .value_kind:     hidden_global_offset_y
      - .offset:         96
        .size:           8
        .value_kind:     hidden_global_offset_z
      - .offset:         104
        .size:           2
        .value_kind:     hidden_grid_dims
    .group_segment_fixed_size: 0
    .kernarg_segment_align: 8
    .kernarg_segment_size: 296
    .language:       OpenCL C
    .language_version:
      - 2
      - 0
    .max_flat_workgroup_size: 1024
    .name:           _ZN9rocsolver6v33100L9copymatA1IfPfEEviiT0_iilPT_
    .private_segment_fixed_size: 0
    .sgpr_count:     19
    .sgpr_spill_count: 0
    .symbol:         _ZN9rocsolver6v33100L9copymatA1IfPfEEviiT0_iilPT_.kd
    .uniform_work_group_size: 1
    .uses_dynamic_stack: false
    .vgpr_count:     3
    .vgpr_spill_count: 0
    .wavefront_size: 32
  - .args:
      - .offset:         0
        .size:           4
        .value_kind:     by_value
      - .offset:         4
        .size:           4
        .value_kind:     by_value
      - .address_space:  global
        .offset:         8
        .size:           8
        .value_kind:     global_buffer
      - .offset:         16
        .size:           4
        .value_kind:     by_value
      - .offset:         20
        .size:           4
        .value_kind:     by_value
      - .offset:         24
        .size:           8
        .value_kind:     by_value
      - .address_space:  global
        .offset:         32
        .size:           8
        .value_kind:     global_buffer
      - .offset:         40
        .size:           4
        .value_kind:     hidden_block_count_x
      - .offset:         44
        .size:           4
        .value_kind:     hidden_block_count_y
      - .offset:         48
        .size:           4
        .value_kind:     hidden_block_count_z
      - .offset:         52
        .size:           2
        .value_kind:     hidden_group_size_x
      - .offset:         54
        .size:           2
        .value_kind:     hidden_group_size_y
      - .offset:         56
        .size:           2
        .value_kind:     hidden_group_size_z
      - .offset:         58
        .size:           2
        .value_kind:     hidden_remainder_x
      - .offset:         60
        .size:           2
        .value_kind:     hidden_remainder_y
      - .offset:         62
        .size:           2
        .value_kind:     hidden_remainder_z
      - .offset:         80
        .size:           8
        .value_kind:     hidden_global_offset_x
      - .offset:         88
        .size:           8
        .value_kind:     hidden_global_offset_y
      - .offset:         96
        .size:           8
        .value_kind:     hidden_global_offset_z
      - .offset:         104
        .size:           2
        .value_kind:     hidden_grid_dims
    .group_segment_fixed_size: 0
    .kernarg_segment_align: 8
    .kernarg_segment_size: 296
    .language:       OpenCL C
    .language_version:
      - 2
      - 0
    .max_flat_workgroup_size: 1024
    .name:           _ZN9rocsolver6v33100L8addmatA1IfPfEEviiT0_iilPT_
    .private_segment_fixed_size: 0
    .sgpr_count:     19
    .sgpr_spill_count: 0
    .symbol:         _ZN9rocsolver6v33100L8addmatA1IfPfEEviiT0_iilPT_.kd
    .uniform_work_group_size: 1
    .uses_dynamic_stack: false
    .vgpr_count:     4
    .vgpr_spill_count: 0
    .wavefront_size: 32
  - .args:
      - .offset:         0
        .size:           4
        .value_kind:     by_value
      - .offset:         4
        .size:           4
        .value_kind:     by_value
      - .address_space:  global
        .offset:         8
        .size:           8
        .value_kind:     global_buffer
      - .offset:         16
        .size:           4
        .value_kind:     by_value
      - .offset:         20
        .size:           4
        .value_kind:     by_value
      - .offset:         24
        .size:           8
        .value_kind:     by_value
      - .address_space:  global
        .offset:         32
        .size:           8
        .value_kind:     global_buffer
      - .offset:         40
        .size:           4
        .value_kind:     hidden_block_count_x
      - .offset:         44
        .size:           4
        .value_kind:     hidden_block_count_y
      - .offset:         48
        .size:           4
        .value_kind:     hidden_block_count_z
      - .offset:         52
        .size:           2
        .value_kind:     hidden_group_size_x
      - .offset:         54
        .size:           2
        .value_kind:     hidden_group_size_y
      - .offset:         56
        .size:           2
        .value_kind:     hidden_group_size_z
      - .offset:         58
        .size:           2
        .value_kind:     hidden_remainder_x
      - .offset:         60
        .size:           2
        .value_kind:     hidden_remainder_y
      - .offset:         62
        .size:           2
        .value_kind:     hidden_remainder_z
      - .offset:         80
        .size:           8
        .value_kind:     hidden_global_offset_x
      - .offset:         88
        .size:           8
        .value_kind:     hidden_global_offset_y
      - .offset:         96
        .size:           8
        .value_kind:     hidden_global_offset_z
      - .offset:         104
        .size:           2
        .value_kind:     hidden_grid_dims
    .group_segment_fixed_size: 0
    .kernarg_segment_align: 8
    .kernarg_segment_size: 296
    .language:       OpenCL C
    .language_version:
      - 2
      - 0
    .max_flat_workgroup_size: 1024
    .name:           _ZN9rocsolver6v33100L9copymatA1IdPdEEviiT0_iilPT_
    .private_segment_fixed_size: 0
    .sgpr_count:     19
    .sgpr_spill_count: 0
    .symbol:         _ZN9rocsolver6v33100L9copymatA1IdPdEEviiT0_iilPT_.kd
    .uniform_work_group_size: 1
    .uses_dynamic_stack: false
    .vgpr_count:     4
    .vgpr_spill_count: 0
    .wavefront_size: 32
  - .args:
      - .offset:         0
        .size:           4
        .value_kind:     by_value
      - .offset:         4
        .size:           4
        .value_kind:     by_value
      - .address_space:  global
        .offset:         8
        .size:           8
        .value_kind:     global_buffer
      - .offset:         16
        .size:           4
        .value_kind:     by_value
      - .offset:         20
        .size:           4
        .value_kind:     by_value
      - .offset:         24
        .size:           8
        .value_kind:     by_value
      - .address_space:  global
        .offset:         32
        .size:           8
        .value_kind:     global_buffer
      - .offset:         40
        .size:           4
        .value_kind:     hidden_block_count_x
      - .offset:         44
        .size:           4
        .value_kind:     hidden_block_count_y
      - .offset:         48
        .size:           4
        .value_kind:     hidden_block_count_z
      - .offset:         52
        .size:           2
        .value_kind:     hidden_group_size_x
      - .offset:         54
        .size:           2
        .value_kind:     hidden_group_size_y
      - .offset:         56
        .size:           2
        .value_kind:     hidden_group_size_z
      - .offset:         58
        .size:           2
        .value_kind:     hidden_remainder_x
      - .offset:         60
        .size:           2
        .value_kind:     hidden_remainder_y
      - .offset:         62
        .size:           2
        .value_kind:     hidden_remainder_z
      - .offset:         80
        .size:           8
        .value_kind:     hidden_global_offset_x
      - .offset:         88
        .size:           8
        .value_kind:     hidden_global_offset_y
      - .offset:         96
        .size:           8
        .value_kind:     hidden_global_offset_z
      - .offset:         104
        .size:           2
        .value_kind:     hidden_grid_dims
    .group_segment_fixed_size: 0
    .kernarg_segment_align: 8
    .kernarg_segment_size: 296
    .language:       OpenCL C
    .language_version:
      - 2
      - 0
    .max_flat_workgroup_size: 1024
    .name:           _ZN9rocsolver6v33100L8addmatA1IdPdEEviiT0_iilPT_
    .private_segment_fixed_size: 0
    .sgpr_count:     19
    .sgpr_spill_count: 0
    .symbol:         _ZN9rocsolver6v33100L8addmatA1IdPdEEviiT0_iilPT_.kd
    .uniform_work_group_size: 1
    .uses_dynamic_stack: false
    .vgpr_count:     6
    .vgpr_spill_count: 0
    .wavefront_size: 32
  - .args:
      - .offset:         0
        .size:           4
        .value_kind:     by_value
      - .offset:         4
        .size:           4
        .value_kind:     by_value
      - .address_space:  global
        .offset:         8
        .size:           8
        .value_kind:     global_buffer
      - .offset:         16
        .size:           4
        .value_kind:     by_value
      - .offset:         20
        .size:           4
        .value_kind:     by_value
      - .offset:         24
        .size:           8
        .value_kind:     by_value
      - .address_space:  global
        .offset:         32
        .size:           8
        .value_kind:     global_buffer
      - .offset:         40
        .size:           4
        .value_kind:     hidden_block_count_x
      - .offset:         44
        .size:           4
        .value_kind:     hidden_block_count_y
      - .offset:         48
        .size:           4
        .value_kind:     hidden_block_count_z
      - .offset:         52
        .size:           2
        .value_kind:     hidden_group_size_x
      - .offset:         54
        .size:           2
        .value_kind:     hidden_group_size_y
      - .offset:         56
        .size:           2
        .value_kind:     hidden_group_size_z
      - .offset:         58
        .size:           2
        .value_kind:     hidden_remainder_x
      - .offset:         60
        .size:           2
        .value_kind:     hidden_remainder_y
      - .offset:         62
        .size:           2
        .value_kind:     hidden_remainder_z
      - .offset:         80
        .size:           8
        .value_kind:     hidden_global_offset_x
      - .offset:         88
        .size:           8
        .value_kind:     hidden_global_offset_y
      - .offset:         96
        .size:           8
        .value_kind:     hidden_global_offset_z
      - .offset:         104
        .size:           2
        .value_kind:     hidden_grid_dims
    .group_segment_fixed_size: 0
    .kernarg_segment_align: 8
    .kernarg_segment_size: 296
    .language:       OpenCL C
    .language_version:
      - 2
      - 0
    .max_flat_workgroup_size: 1024
    .name:           _ZN9rocsolver6v33100L9copymatA1I19rocblas_complex_numIfEPS3_EEviiT0_iilPT_
    .private_segment_fixed_size: 0
    .sgpr_count:     19
    .sgpr_spill_count: 0
    .symbol:         _ZN9rocsolver6v33100L9copymatA1I19rocblas_complex_numIfEPS3_EEviiT0_iilPT_.kd
    .uniform_work_group_size: 1
    .uses_dynamic_stack: false
    .vgpr_count:     4
    .vgpr_spill_count: 0
    .wavefront_size: 32
  - .args:
      - .offset:         0
        .size:           4
        .value_kind:     by_value
      - .offset:         4
        .size:           4
        .value_kind:     by_value
      - .address_space:  global
        .offset:         8
        .size:           8
        .value_kind:     global_buffer
      - .offset:         16
        .size:           4
        .value_kind:     by_value
      - .offset:         20
        .size:           4
        .value_kind:     by_value
      - .offset:         24
        .size:           8
        .value_kind:     by_value
      - .address_space:  global
        .offset:         32
        .size:           8
        .value_kind:     global_buffer
      - .offset:         40
        .size:           4
        .value_kind:     hidden_block_count_x
      - .offset:         44
        .size:           4
        .value_kind:     hidden_block_count_y
      - .offset:         48
        .size:           4
        .value_kind:     hidden_block_count_z
      - .offset:         52
        .size:           2
        .value_kind:     hidden_group_size_x
      - .offset:         54
        .size:           2
        .value_kind:     hidden_group_size_y
      - .offset:         56
        .size:           2
        .value_kind:     hidden_group_size_z
      - .offset:         58
        .size:           2
        .value_kind:     hidden_remainder_x
      - .offset:         60
        .size:           2
        .value_kind:     hidden_remainder_y
      - .offset:         62
        .size:           2
        .value_kind:     hidden_remainder_z
      - .offset:         80
        .size:           8
        .value_kind:     hidden_global_offset_x
      - .offset:         88
        .size:           8
        .value_kind:     hidden_global_offset_y
      - .offset:         96
        .size:           8
        .value_kind:     hidden_global_offset_z
      - .offset:         104
        .size:           2
        .value_kind:     hidden_grid_dims
    .group_segment_fixed_size: 0
    .kernarg_segment_align: 8
    .kernarg_segment_size: 296
    .language:       OpenCL C
    .language_version:
      - 2
      - 0
    .max_flat_workgroup_size: 1024
    .name:           _ZN9rocsolver6v33100L8addmatA1I19rocblas_complex_numIfEPS3_EEviiT0_iilPT_
    .private_segment_fixed_size: 0
    .sgpr_count:     19
    .sgpr_spill_count: 0
    .symbol:         _ZN9rocsolver6v33100L8addmatA1I19rocblas_complex_numIfEPS3_EEviiT0_iilPT_.kd
    .uniform_work_group_size: 1
    .uses_dynamic_stack: false
    .vgpr_count:     6
    .vgpr_spill_count: 0
    .wavefront_size: 32
  - .args:
      - .offset:         0
        .size:           4
        .value_kind:     by_value
      - .offset:         4
        .size:           4
        .value_kind:     by_value
      - .address_space:  global
        .offset:         8
        .size:           8
        .value_kind:     global_buffer
      - .offset:         16
        .size:           4
        .value_kind:     by_value
      - .offset:         20
        .size:           4
        .value_kind:     by_value
      - .offset:         24
        .size:           8
        .value_kind:     by_value
      - .address_space:  global
        .offset:         32
        .size:           8
        .value_kind:     global_buffer
      - .offset:         40
        .size:           4
        .value_kind:     hidden_block_count_x
      - .offset:         44
        .size:           4
        .value_kind:     hidden_block_count_y
      - .offset:         48
        .size:           4
        .value_kind:     hidden_block_count_z
      - .offset:         52
        .size:           2
        .value_kind:     hidden_group_size_x
      - .offset:         54
        .size:           2
        .value_kind:     hidden_group_size_y
      - .offset:         56
        .size:           2
        .value_kind:     hidden_group_size_z
      - .offset:         58
        .size:           2
        .value_kind:     hidden_remainder_x
      - .offset:         60
        .size:           2
        .value_kind:     hidden_remainder_y
      - .offset:         62
        .size:           2
        .value_kind:     hidden_remainder_z
      - .offset:         80
        .size:           8
        .value_kind:     hidden_global_offset_x
      - .offset:         88
        .size:           8
        .value_kind:     hidden_global_offset_y
      - .offset:         96
        .size:           8
        .value_kind:     hidden_global_offset_z
      - .offset:         104
        .size:           2
        .value_kind:     hidden_grid_dims
    .group_segment_fixed_size: 0
    .kernarg_segment_align: 8
    .kernarg_segment_size: 296
    .language:       OpenCL C
    .language_version:
      - 2
      - 0
    .max_flat_workgroup_size: 1024
    .name:           _ZN9rocsolver6v33100L9copymatA1I19rocblas_complex_numIdEPS3_EEviiT0_iilPT_
    .private_segment_fixed_size: 0
    .sgpr_count:     19
    .sgpr_spill_count: 0
    .symbol:         _ZN9rocsolver6v33100L9copymatA1I19rocblas_complex_numIdEPS3_EEviiT0_iilPT_.kd
    .uniform_work_group_size: 1
    .uses_dynamic_stack: false
    .vgpr_count:     6
    .vgpr_spill_count: 0
    .wavefront_size: 32
  - .args:
      - .offset:         0
        .size:           4
        .value_kind:     by_value
      - .offset:         4
        .size:           4
        .value_kind:     by_value
      - .address_space:  global
        .offset:         8
        .size:           8
        .value_kind:     global_buffer
      - .offset:         16
        .size:           4
        .value_kind:     by_value
      - .offset:         20
        .size:           4
        .value_kind:     by_value
      - .offset:         24
        .size:           8
        .value_kind:     by_value
      - .address_space:  global
        .offset:         32
        .size:           8
        .value_kind:     global_buffer
      - .offset:         40
        .size:           4
        .value_kind:     hidden_block_count_x
      - .offset:         44
        .size:           4
        .value_kind:     hidden_block_count_y
      - .offset:         48
        .size:           4
        .value_kind:     hidden_block_count_z
      - .offset:         52
        .size:           2
        .value_kind:     hidden_group_size_x
      - .offset:         54
        .size:           2
        .value_kind:     hidden_group_size_y
      - .offset:         56
        .size:           2
        .value_kind:     hidden_group_size_z
      - .offset:         58
        .size:           2
        .value_kind:     hidden_remainder_x
      - .offset:         60
        .size:           2
        .value_kind:     hidden_remainder_y
      - .offset:         62
        .size:           2
        .value_kind:     hidden_remainder_z
      - .offset:         80
        .size:           8
        .value_kind:     hidden_global_offset_x
      - .offset:         88
        .size:           8
        .value_kind:     hidden_global_offset_y
      - .offset:         96
        .size:           8
        .value_kind:     hidden_global_offset_z
      - .offset:         104
        .size:           2
        .value_kind:     hidden_grid_dims
    .group_segment_fixed_size: 0
    .kernarg_segment_align: 8
    .kernarg_segment_size: 296
    .language:       OpenCL C
    .language_version:
      - 2
      - 0
    .max_flat_workgroup_size: 1024
    .name:           _ZN9rocsolver6v33100L8addmatA1I19rocblas_complex_numIdEPS3_EEviiT0_iilPT_
    .private_segment_fixed_size: 0
    .sgpr_count:     19
    .sgpr_spill_count: 0
    .symbol:         _ZN9rocsolver6v33100L8addmatA1I19rocblas_complex_numIdEPS3_EEviiT0_iilPT_.kd
    .uniform_work_group_size: 1
    .uses_dynamic_stack: false
    .vgpr_count:     10
    .vgpr_spill_count: 0
    .wavefront_size: 32
amdhsa.target:   amdgcn-amd-amdhsa--gfx1250
amdhsa.version:
  - 1
  - 2
...

	.end_amdgpu_metadata
